;; amdgpu-corpus repo=ggml-org/llama.cpp kind=compiled arch=gfx1250 opt=O3
	.amdgcn_target "amdgcn-amd-amdhsa--gfx1250"
	.amdhsa_code_object_version 6
	.section	.text._Z16conv2d_dw_kernelIf11whcn_layoutEvPKT_S3_PS1_iiiiiiiiiiiiii,"axG",@progbits,_Z16conv2d_dw_kernelIf11whcn_layoutEvPKT_S3_PS1_iiiiiiiiiiiiii,comdat
	.protected	_Z16conv2d_dw_kernelIf11whcn_layoutEvPKT_S3_PS1_iiiiiiiiiiiiii ; -- Begin function _Z16conv2d_dw_kernelIf11whcn_layoutEvPKT_S3_PS1_iiiiiiiiiiiiii
	.globl	_Z16conv2d_dw_kernelIf11whcn_layoutEvPKT_S3_PS1_iiiiiiiiiiiiii
	.p2align	8
	.type	_Z16conv2d_dw_kernelIf11whcn_layoutEvPKT_S3_PS1_iiiiiiiiiiiiii,@function
_Z16conv2d_dw_kernelIf11whcn_layoutEvPKT_S3_PS1_iiiiiiiiiiiiii: ; @_Z16conv2d_dw_kernelIf11whcn_layoutEvPKT_S3_PS1_iiiiiiiiiiiiii
; %bb.0:
	s_clause 0x2
	s_load_b32 s2, s[0:1], 0x5c
	s_load_b256 s[4:11], s[0:1], 0x18
	s_load_b64 s[16:17], s[0:1], 0x48
	s_bfe_u32 s3, ttmp6, 0x4000c
	s_and_b32 s12, ttmp6, 15
	s_add_co_i32 s3, s3, 1
	s_getreg_b32 s13, hwreg(HW_REG_IB_STS2, 6, 4)
	s_mul_i32 s3, ttmp9, s3
	s_delay_alu instid0(SALU_CYCLE_1) | instskip(SKIP_4) | instid1(SALU_CYCLE_1)
	s_add_co_i32 s12, s12, s3
	s_wait_kmcnt 0x0
	s_and_b32 s2, s2, 0xffff
	s_cmp_eq_u32 s13, 0
	s_cselect_b32 s3, ttmp9, s12
	v_mad_u32 v0, s3, s2, v0
	s_mul_i32 s2, s7, s6
	s_delay_alu instid0(SALU_CYCLE_1) | instskip(NEXT) | instid1(SALU_CYCLE_1)
	s_mul_i32 s18, s2, s16
	s_mul_i32 s3, s18, s17
	s_delay_alu instid0(VALU_DEP_1) | instid1(SALU_CYCLE_1)
	v_cmp_gt_i32_e32 vcc_lo, s3, v0
	s_mov_b32 s3, 0
	s_and_saveexec_b32 s12, vcc_lo
	s_cbranch_execz .LBB0_12
; %bb.1:
	s_abs_i32 s12, s6
	s_abs_i32 s17, s2
	s_cvt_f32_u32 s13, s12
	s_sub_co_i32 s14, 0, s12
	s_abs_i32 s19, s7
	s_abs_i32 s20, s16
	v_rcp_iflag_f32_e32 v1, s13
	s_cvt_f32_u32 s22, s20
	s_ashr_i32 s2, s2, 31
	s_abs_i32 s21, s18
	s_sub_co_i32 s23, 0, s20
	v_rcp_iflag_f32_e32 v9, s22
	s_cvt_f32_u32 s24, s21
	v_readfirstlane_b32 s13, v1
	v_dual_sub_nc_u32 v1, 0, v0 :: v_dual_ashrrev_i32 v4, 31, v0
	s_sub_co_i32 s22, 0, s21
	s_mul_f32 s13, s13, 0x4f7ffffe
	s_delay_alu instid0(VALU_DEP_1) | instskip(NEXT) | instid1(SALU_CYCLE_2)
	v_max_i32_e32 v1, v0, v1
	s_cvt_u32_f32 s13, s13
	s_delay_alu instid0(SALU_CYCLE_3) | instskip(NEXT) | instid1(SALU_CYCLE_1)
	s_mul_i32 s14, s14, s13
	s_mul_hi_u32 s14, s13, s14
	s_delay_alu instid0(SALU_CYCLE_1) | instskip(SKIP_3) | instid1(SALU_CYCLE_3)
	s_add_co_i32 s13, s13, s14
	s_ashr_i32 s14, s6, 31
	v_mul_hi_u32 v2, v1, s13
	s_cvt_f32_u32 s13, s17
	v_rcp_iflag_f32_e32 v6, s13
	s_cvt_f32_u32 s13, s19
	s_delay_alu instid0(VALU_DEP_1) | instskip(NEXT) | instid1(VALU_DEP_1)
	v_mul_lo_u32 v3, v2, s12
	v_dual_add_nc_u32 v5, 1, v2 :: v_dual_sub_nc_u32 v3, v1, v3
	s_delay_alu instid0(VALU_DEP_1) | instskip(NEXT) | instid1(VALU_DEP_2)
	v_cmp_le_u32_e32 vcc_lo, s12, v3
	v_cndmask_b32_e32 v2, v2, v5, vcc_lo
	v_subrev_nc_u32_e32 v7, s12, v3
	v_rcp_iflag_f32_e32 v5, s13
	v_nop
	v_readfirstlane_b32 s13, v6
	s_delay_alu instid0(VALU_DEP_3) | instskip(SKIP_1) | instid1(VALU_DEP_1)
	v_dual_cndmask_b32 v3, v3, v7 :: v_dual_add_nc_u32 v6, 1, v2
	s_mul_f32 s13, s13, 0x4f7ffffe
	v_cmp_le_u32_e32 vcc_lo, s12, v3
	v_xor_b32_e32 v7, s14, v4
	s_delay_alu instid0(SALU_CYCLE_1) | instskip(SKIP_4) | instid1(SALU_CYCLE_1)
	s_cvt_u32_f32 s13, s13
	s_sub_co_i32 s14, 0, s17
	v_readfirstlane_b32 s12, v5
	v_cndmask_b32_e32 v2, v2, v6, vcc_lo
	s_mul_i32 s14, s14, s13
	s_mul_hi_u32 s14, s13, s14
	s_mul_f32 s12, s12, 0x4f7ffffe
	s_delay_alu instid0(VALU_DEP_1) | instskip(SKIP_1) | instid1(SALU_CYCLE_1)
	v_xor_b32_e32 v2, v2, v7
	s_add_co_i32 s13, s13, s14
	s_cvt_u32_f32 s12, s12
	s_delay_alu instid0(VALU_DEP_1) | instskip(SKIP_2) | instid1(SALU_CYCLE_1)
	v_sub_nc_u32_e32 v5, v2, v7
	v_mul_hi_u32 v2, v1, s13
	s_sub_co_i32 s13, 0, s19
	s_mul_i32 s13, s13, s12
	s_delay_alu instid0(SALU_CYCLE_1) | instskip(NEXT) | instid1(SALU_CYCLE_1)
	s_mul_hi_u32 s13, s12, s13
	s_add_co_i32 s12, s12, s13
	s_delay_alu instid0(VALU_DEP_1) | instskip(NEXT) | instid1(VALU_DEP_1)
	v_mul_lo_u32 v7, v2, s17
	v_dual_add_nc_u32 v8, 1, v2 :: v_dual_sub_nc_u32 v7, v1, v7
	v_sub_nc_u32_e32 v3, 0, v5
	s_delay_alu instid0(VALU_DEP_2) | instskip(NEXT) | instid1(VALU_DEP_2)
	v_subrev_nc_u32_e32 v10, s17, v7
	v_max_i32_e32 v3, v5, v3
	v_cmp_le_u32_e32 vcc_lo, s17, v7
	s_delay_alu instid0(VALU_DEP_2) | instskip(SKIP_1) | instid1(VALU_DEP_1)
	v_mul_hi_u32 v6, v3, s12
	s_load_b128 s[12:15], s[0:1], 0x38
	v_mul_lo_u32 v6, v6, s19
	v_cndmask_b32_e32 v2, v2, v8, vcc_lo
	v_rcp_iflag_f32_e32 v8, s24
	s_wait_kmcnt 0x0
	s_abs_i32 s24, s15
	s_delay_alu instid0(VALU_DEP_2) | instskip(SKIP_2) | instid1(VALU_DEP_3)
	v_sub_nc_u32_e32 v3, v3, v6
	v_dual_cndmask_b32 v6, v7, v10, vcc_lo :: v_dual_bitop2_b32 v10, s2, v4 bitop3:0x14
	v_readfirstlane_b32 s2, v9
	v_subrev_nc_u32_e32 v9, s19, v3
	v_add_nc_u32_e32 v7, 1, v2
	s_delay_alu instid0(VALU_DEP_4) | instskip(SKIP_4) | instid1(SALU_CYCLE_1)
	v_cmp_le_u32_e32 vcc_lo, s17, v6
	v_readfirstlane_b32 s17, v8
	s_mul_f32 s2, s2, 0x4f7ffffe
	v_cndmask_b32_e32 v2, v2, v7, vcc_lo
	v_cmp_le_u32_e32 vcc_lo, s19, v3
	s_cvt_u32_f32 s2, s2
	s_mul_f32 s17, s17, 0x4f7ffffe
	v_cndmask_b32_e32 v3, v3, v9, vcc_lo
	s_delay_alu instid0(SALU_CYCLE_1) | instskip(NEXT) | instid1(SALU_CYCLE_1)
	s_mul_i32 s23, s23, s2
	s_cvt_u32_f32 s17, s17
	s_delay_alu instid0(VALU_DEP_1) | instskip(SKIP_3) | instid1(SALU_CYCLE_1)
	v_subrev_nc_u32_e32 v6, s19, v3
	v_cmp_le_u32_e32 vcc_lo, s19, v3
	s_cvt_f32_u32 s19, s24
	s_mul_i32 s22, s22, s17
	s_mul_hi_u32 s22, s17, s22
	v_cndmask_b32_e32 v3, v3, v6, vcc_lo
	v_xor_b32_e32 v2, v2, v10
	v_rcp_iflag_f32_e32 v8, s19
	s_mul_hi_u32 s19, s2, s23
	s_add_co_i32 s17, s17, s22
	s_add_co_i32 s2, s2, s19
	v_dual_sub_nc_u32 v7, v2, v10 :: v_dual_ashrrev_i32 v2, 31, v5
	v_mul_hi_u32 v10, v1, s17
	s_abs_i32 s17, s14
	s_delay_alu instid0(VALU_DEP_2) | instskip(NEXT) | instid1(VALU_DEP_1)
	v_dual_sub_nc_u32 v6, 0, v7 :: v_dual_bitop2_b32 v3, v3, v2 bitop3:0x14
	v_max_i32_e32 v9, v7, v6
	s_delay_alu instid0(VALU_DEP_2) | instskip(NEXT) | instid1(VALU_DEP_4)
	v_sub_nc_u32_e32 v6, v3, v2
	v_mul_lo_u32 v11, v10, s21
	s_delay_alu instid0(VALU_DEP_3) | instskip(NEXT) | instid1(VALU_DEP_3)
	v_mul_hi_u32 v3, v9, s2
	v_mul_lo_u32 v2, v6, s11
	s_add_co_i32 s11, s13, s15
	v_readfirstlane_b32 s2, v8
	s_mul_f32 s2, s2, 0x4f7ffffe
	v_sub_nc_u32_e32 v1, v1, v11
	v_mul_lo_u32 v3, v3, s20
	v_xad_u32 v8, v2, -1, s11
	s_cvt_u32_f32 s2, s2
	s_sub_co_i32 s11, 0, s24
	v_cmp_le_u32_e32 vcc_lo, s21, v1
	v_subrev_nc_u32_e32 v16, s21, v1
	v_dual_add_nc_u32 v12, s5, v8 :: v_dual_sub_nc_u32 v13, 0, v8
	v_add_nc_u32_e32 v14, 1, v10
	s_mul_i32 s11, s11, s2
	s_delay_alu instid0(VALU_DEP_2) | instskip(NEXT) | instid1(VALU_DEP_3)
	v_dual_sub_nc_u32 v15, 0, v12 :: v_dual_sub_nc_u32 v3, v9, v3
	v_max_i32_e32 v9, v8, v13
	s_mul_hi_u32 s11, s2, s11
	s_delay_alu instid0(SALU_CYCLE_1) | instskip(NEXT) | instid1(VALU_DEP_2)
	s_add_co_i32 s2, s2, s11
	v_subrev_nc_u32_e32 v13, s20, v3
	v_max_i32_e32 v11, v12, v15
	v_mul_hi_u32 v15, v9, s2
	s_ashr_i32 s11, s15, 31
	v_ashrrev_i32_e32 v12, 31, v12
	s_delay_alu instid0(VALU_DEP_3) | instskip(SKIP_1) | instid1(VALU_DEP_1)
	v_mul_hi_u32 v17, v11, s2
	v_cmp_le_u32_e64 s2, s20, v3
	v_cndmask_b32_e64 v3, v3, v13, s2
	s_ashr_i32 s2, s18, 31
	s_delay_alu instid0(SALU_CYCLE_1)
	v_dual_cndmask_b32 v10, v10, v14, vcc_lo :: v_dual_bitop2_b32 v4, s2, v4 bitop3:0x14
	v_mul_lo_u32 v14, v15, s24
	v_cndmask_b32_e32 v1, v1, v16, vcc_lo
	v_subrev_nc_u32_e32 v13, s20, v3
	v_cmp_le_u32_e32 vcc_lo, s20, v3
	v_mul_lo_u32 v18, v17, s24
	v_dual_add_nc_u32 v16, 1, v10 :: v_dual_ashrrev_i32 v7, 31, v7
	s_delay_alu instid0(VALU_DEP_4) | instskip(SKIP_2) | instid1(VALU_DEP_3)
	v_cndmask_b32_e32 v3, v3, v13, vcc_lo
	v_cmp_le_u32_e32 vcc_lo, s21, v1
	v_dual_ashrrev_i32 v8, 31, v8 :: v_dual_sub_nc_u32 v9, v9, v14
	v_dual_add_nc_u32 v13, 1, v17 :: v_dual_bitop2_b32 v3, v3, v7 bitop3:0x14
	v_cndmask_b32_e32 v1, v10, v16, vcc_lo
	s_delay_alu instid0(VALU_DEP_3) | instskip(SKIP_4) | instid1(VALU_DEP_4)
	v_dual_add_nc_u32 v10, 1, v15 :: v_dual_bitop2_b32 v8, s11, v8 bitop3:0x14
	v_sub_nc_u32_e32 v11, v11, v18
	v_subrev_nc_u32_e32 v14, s24, v9
	v_cmp_le_u32_e32 vcc_lo, s24, v9
	v_sub_nc_u32_e32 v3, v3, v7
	v_cmp_le_u32_e64 s2, s24, v11
	v_cndmask_b32_e32 v10, v15, v10, vcc_lo
	v_subrev_nc_u32_e32 v15, s24, v11
	v_cndmask_b32_e32 v9, v9, v14, vcc_lo
	s_delay_alu instid0(VALU_DEP_3) | instskip(NEXT) | instid1(VALU_DEP_3)
	v_dual_cndmask_b32 v13, v17, v13, s2 :: v_dual_add_nc_u32 v14, 1, v10
	v_cndmask_b32_e64 v11, v11, v15, s2
	s_delay_alu instid0(VALU_DEP_3) | instskip(NEXT) | instid1(VALU_DEP_3)
	v_cmp_le_u32_e32 vcc_lo, s24, v9
	v_add_nc_u32_e32 v15, 1, v13
	s_cvt_f32_u32 s2, s17
	v_cndmask_b32_e32 v9, v10, v14, vcc_lo
	v_cmp_le_u32_e32 vcc_lo, s24, v11
	v_xor_b32_e32 v10, s11, v12
	s_mov_b32 s11, exec_lo
	s_delay_alu instid0(VALU_DEP_3) | instskip(SKIP_1) | instid1(VALU_DEP_1)
	v_xor_b32_e32 v9, v9, v8
	v_cndmask_b32_e32 v11, v13, v15, vcc_lo
	v_dual_sub_nc_u32 v8, v9, v8 :: v_dual_bitop2_b32 v7, v11, v10 bitop3:0x14
	v_xor_b32_e32 v1, v1, v4
	s_delay_alu instid0(VALU_DEP_2) | instskip(NEXT) | instid1(VALU_DEP_2)
	v_dual_sub_nc_u32 v9, v7, v10 :: v_dual_max_i32 v8, 0, v8
	v_sub_nc_u32_e32 v4, v1, v4
	v_mul_lo_u32 v1, v5, s6
	v_rcp_iflag_f32_e32 v5, s2
	s_delay_alu instid0(VALU_DEP_3) | instskip(NEXT) | instid1(VALU_DEP_3)
	v_min_i32_e32 v9, s9, v9
	v_mad_u32 v7, v4, s16, v3
	s_delay_alu instid0(TRANS32_DEP_1) | instskip(NEXT) | instid1(VALU_DEP_3)
	v_readfirstlane_b32 s2, v5
	v_cmpx_ge_i32_e64 v8, v9
	s_xor_b32 s11, exec_lo, s11
; %bb.2:
	v_mad_u32 v7, v4, s16, v3
                                        ; implicit-def: $vgpr9
                                        ; implicit-def: $vgpr8
                                        ; implicit-def: $vgpr2
                                        ; implicit-def: $vgpr3
; %bb.3:
	s_or_saveexec_b32 s11, s11
	s_load_b64 s[20:21], s[0:1], 0x10
	v_dual_mov_b32 v1, 0 :: v_dual_sub_nc_u32 v10, v0, v1
	s_xor_b32 exec_lo, exec_lo, s11
	s_cbranch_execz .LBB0_11
; %bb.4:
	s_delay_alu instid0(VALU_DEP_1) | instskip(SKIP_4) | instid1(SALU_CYCLE_1)
	v_mul_lo_u32 v16, v10, s10
	s_add_co_i32 s10, s12, s14
	s_mul_f32 s2, s2, 0x4f7ffffe
	v_mul_lo_u32 v18, s15, v8
	v_mad_u32 v3, v3, s9, v8
	s_cvt_u32_f32 s2, s2
	s_delay_alu instid0(VALU_DEP_3) | instskip(SKIP_1) | instid1(SALU_CYCLE_1)
	v_xad_u32 v11, v16, -1, s10
	s_sub_co_i32 s10, 0, s17
	s_mul_i32 s10, s10, s2
	s_delay_alu instid0(SALU_CYCLE_1) | instskip(NEXT) | instid1(VALU_DEP_1)
	s_mul_hi_u32 s10, s2, s10
	v_dual_sub_nc_u32 v0, 0, v11 :: v_dual_add_nc_u32 v17, s4, v11
	s_add_co_i32 s2, s2, s10
	s_delay_alu instid0(VALU_DEP_1) | instskip(NEXT) | instid1(VALU_DEP_1)
	v_max_i32_e32 v0, v11, v0
	v_mul_u64_e32 v[4:5], s[2:3], v[0:1]
	s_delay_alu instid0(VALU_DEP_3) | instskip(NEXT) | instid1(VALU_DEP_1)
	v_sub_nc_u32_e32 v4, 0, v17
	v_max_i32_e32 v12, v17, v4
	s_delay_alu instid0(VALU_DEP_3) | instskip(NEXT) | instid1(VALU_DEP_1)
	v_mul_lo_u32 v4, v5, s17
	v_dual_mov_b32 v13, v1 :: v_dual_sub_nc_u32 v0, v0, v4
	v_add_nc_u32_e32 v4, 1, v5
	s_delay_alu instid0(VALU_DEP_2) | instskip(SKIP_1) | instid1(VALU_DEP_3)
	v_mul_u64_e32 v[14:15], s[2:3], v[12:13]
	s_ashr_i32 s2, s14, 31
	v_subrev_nc_u32_e32 v14, s17, v0
	v_cmp_le_u32_e32 vcc_lo, s17, v0
	v_dual_cndmask_b32 v4, v5, v4 :: v_dual_ashrrev_i32 v5, 31, v11
	s_delay_alu instid0(VALU_DEP_3) | instskip(SKIP_1) | instid1(VALU_DEP_3)
	v_cndmask_b32_e32 v0, v0, v14, vcc_lo
	v_mul_lo_u32 v11, v7, s5
	v_dual_add_nc_u32 v14, 1, v4 :: v_dual_bitop2_b32 v5, s2, v5 bitop3:0x14
	s_delay_alu instid0(VALU_DEP_3) | instskip(NEXT) | instid1(VALU_DEP_2)
	v_cmp_le_u32_e32 vcc_lo, s17, v0
	v_dual_cndmask_b32 v0, v4, v14, vcc_lo :: v_dual_ashrrev_i32 v14, 31, v17
	s_delay_alu instid0(VALU_DEP_4) | instskip(NEXT) | instid1(VALU_DEP_1)
	v_add3_u32 v2, v18, v11, v2
	v_subrev_nc_u32_e32 v2, s13, v2
	v_mul_lo_u32 v13, v15, s17
	s_delay_alu instid0(VALU_DEP_1) | instskip(NEXT) | instid1(VALU_DEP_1)
	v_dual_sub_nc_u32 v12, v12, v13 :: v_dual_add_nc_u32 v13, 1, v15
	v_cmp_le_u32_e32 vcc_lo, s17, v12
	s_delay_alu instid0(VALU_DEP_2) | instskip(SKIP_1) | instid1(VALU_DEP_1)
	v_cndmask_b32_e32 v13, v15, v13, vcc_lo
	v_subrev_nc_u32_e32 v4, s17, v12
	v_dual_cndmask_b32 v4, v12, v4, vcc_lo :: v_dual_add_nc_u32 v12, 1, v13
	s_delay_alu instid0(VALU_DEP_1) | instskip(SKIP_4) | instid1(VALU_DEP_1)
	v_cmp_le_u32_e32 vcc_lo, s17, v4
	v_xor_b32_e32 v0, v0, v5
	s_load_b128 s[16:19], s[0:1], 0x0
	s_wait_xcnt 0x0
	s_mov_b32 s1, 0
	v_dual_cndmask_b32 v4, v13, v12, vcc_lo :: v_dual_sub_nc_u32 v0, v0, v5
	v_xor_b32_e32 v5, s2, v14
	v_mul_lo_u32 v13, s4, v2
	s_mul_i32 s2, s15, s4
	s_delay_alu instid0(VALU_DEP_2) | instskip(NEXT) | instid1(VALU_DEP_1)
	v_xor_b32_e32 v4, v4, v5
	v_dual_sub_nc_u32 v2, v4, v5 :: v_dual_max_i32 v0, 0, v0
	s_delay_alu instid0(VALU_DEP_1) | instskip(NEXT) | instid1(VALU_DEP_2)
	v_mul_lo_u32 v12, s14, v0
	v_min_i32_e32 v11, s8, v2
	v_mad_u32 v2, s8, v3, v0
	s_delay_alu instid0(VALU_DEP_2) | instskip(NEXT) | instid1(VALU_DEP_4)
	v_cmp_lt_i32_e32 vcc_lo, v0, v11
	v_add3_u32 v3, v12, v13, v16
	s_delay_alu instid0(VALU_DEP_1)
	v_subrev_nc_u32_e32 v12, s12, v3
	s_branch .LBB0_6
.LBB0_5:                                ;   in Loop: Header=BB0_6 Depth=1
	s_or_b32 exec_lo, exec_lo, s3
	s_delay_alu instid0(VALU_DEP_4) | instskip(SKIP_1) | instid1(VALU_DEP_2)
	v_dual_add_nc_u32 v8, 1, v8 :: v_dual_add_nc_u32 v2, s8, v2
	v_add_nc_u32_e32 v12, s2, v12
	v_cmp_ge_i32_e64 s0, v8, v9
	s_or_b32 s1, s0, s1
	s_delay_alu instid0(SALU_CYCLE_1)
	s_and_not1_b32 exec_lo, exec_lo, s1
	s_cbranch_execz .LBB0_10
.LBB0_6:                                ; =>This Loop Header: Depth=1
                                        ;     Child Loop BB0_8 Depth 2
	s_and_saveexec_b32 s3, vcc_lo
	s_cbranch_execz .LBB0_5
; %bb.7:                                ;   in Loop: Header=BB0_6 Depth=1
	s_delay_alu instid0(VALU_DEP_1) | instskip(SKIP_2) | instid1(VALU_DEP_1)
	v_dual_ashrrev_i32 v3, 31, v2 :: v_dual_mov_b32 v13, v12
	s_mov_b32 s4, 0
	s_wait_kmcnt 0x0
	v_lshl_add_u64 v[4:5], v[2:3], 2, s[18:19]
	v_mov_b32_e32 v3, v0
.LBB0_8:                                ;   Parent Loop BB0_6 Depth=1
                                        ; =>  This Inner Loop Header: Depth=2
	global_load_b32 v14, v13, s[16:17] scale_offset
	global_load_b32 v15, v[4:5], off
	s_wait_xcnt 0x1
	v_dual_add_nc_u32 v3, 1, v3 :: v_dual_add_nc_u32 v13, s14, v13
	s_wait_xcnt 0x0
	v_add_nc_u64_e32 v[4:5], 4, v[4:5]
	s_delay_alu instid0(VALU_DEP_2)
	v_cmp_ge_i32_e64 s0, v3, v11
	s_or_b32 s4, s0, s4
	s_wait_loadcnt 0x0
	v_fmac_f32_e32 v1, v14, v15
	s_and_not1_b32 exec_lo, exec_lo, s4
	s_cbranch_execnz .LBB0_8
; %bb.9:                                ;   in Loop: Header=BB0_6 Depth=1
	s_or_b32 exec_lo, exec_lo, s4
	s_branch .LBB0_5
.LBB0_10:
	s_or_b32 exec_lo, exec_lo, s1
.LBB0_11:
	s_delay_alu instid0(SALU_CYCLE_1) | instskip(NEXT) | instid1(VALU_DEP_2)
	s_or_b32 exec_lo, exec_lo, s11
	v_mad_u32 v0, v7, s7, v6
	s_delay_alu instid0(VALU_DEP_1)
	v_mad_u32 v0, v0, s6, v10
	s_wait_kmcnt 0x0
	global_store_b32 v0, v1, s[20:21] scale_offset
.LBB0_12:
	s_endpgm
	.section	.rodata,"a",@progbits
	.p2align	6, 0x0
	.amdhsa_kernel _Z16conv2d_dw_kernelIf11whcn_layoutEvPKT_S3_PS1_iiiiiiiiiiiiii
		.amdhsa_group_segment_fixed_size 0
		.amdhsa_private_segment_fixed_size 0
		.amdhsa_kernarg_size 336
		.amdhsa_user_sgpr_count 2
		.amdhsa_user_sgpr_dispatch_ptr 0
		.amdhsa_user_sgpr_queue_ptr 0
		.amdhsa_user_sgpr_kernarg_segment_ptr 1
		.amdhsa_user_sgpr_dispatch_id 0
		.amdhsa_user_sgpr_kernarg_preload_length 0
		.amdhsa_user_sgpr_kernarg_preload_offset 0
		.amdhsa_user_sgpr_private_segment_size 0
		.amdhsa_wavefront_size32 1
		.amdhsa_uses_dynamic_stack 0
		.amdhsa_enable_private_segment 0
		.amdhsa_system_sgpr_workgroup_id_x 1
		.amdhsa_system_sgpr_workgroup_id_y 0
		.amdhsa_system_sgpr_workgroup_id_z 0
		.amdhsa_system_sgpr_workgroup_info 0
		.amdhsa_system_vgpr_workitem_id 0
		.amdhsa_next_free_vgpr 19
		.amdhsa_next_free_sgpr 25
		.amdhsa_named_barrier_count 0
		.amdhsa_reserve_vcc 1
		.amdhsa_float_round_mode_32 0
		.amdhsa_float_round_mode_16_64 0
		.amdhsa_float_denorm_mode_32 3
		.amdhsa_float_denorm_mode_16_64 3
		.amdhsa_fp16_overflow 0
		.amdhsa_memory_ordered 1
		.amdhsa_forward_progress 1
		.amdhsa_inst_pref_size 15
		.amdhsa_round_robin_scheduling 0
		.amdhsa_exception_fp_ieee_invalid_op 0
		.amdhsa_exception_fp_denorm_src 0
		.amdhsa_exception_fp_ieee_div_zero 0
		.amdhsa_exception_fp_ieee_overflow 0
		.amdhsa_exception_fp_ieee_underflow 0
		.amdhsa_exception_fp_ieee_inexact 0
		.amdhsa_exception_int_div_zero 0
	.end_amdhsa_kernel
	.section	.text._Z16conv2d_dw_kernelIf11whcn_layoutEvPKT_S3_PS1_iiiiiiiiiiiiii,"axG",@progbits,_Z16conv2d_dw_kernelIf11whcn_layoutEvPKT_S3_PS1_iiiiiiiiiiiiii,comdat
.Lfunc_end0:
	.size	_Z16conv2d_dw_kernelIf11whcn_layoutEvPKT_S3_PS1_iiiiiiiiiiiiii, .Lfunc_end0-_Z16conv2d_dw_kernelIf11whcn_layoutEvPKT_S3_PS1_iiiiiiiiiiiiii
                                        ; -- End function
	.set _Z16conv2d_dw_kernelIf11whcn_layoutEvPKT_S3_PS1_iiiiiiiiiiiiii.num_vgpr, 19
	.set _Z16conv2d_dw_kernelIf11whcn_layoutEvPKT_S3_PS1_iiiiiiiiiiiiii.num_agpr, 0
	.set _Z16conv2d_dw_kernelIf11whcn_layoutEvPKT_S3_PS1_iiiiiiiiiiiiii.numbered_sgpr, 25
	.set _Z16conv2d_dw_kernelIf11whcn_layoutEvPKT_S3_PS1_iiiiiiiiiiiiii.num_named_barrier, 0
	.set _Z16conv2d_dw_kernelIf11whcn_layoutEvPKT_S3_PS1_iiiiiiiiiiiiii.private_seg_size, 0
	.set _Z16conv2d_dw_kernelIf11whcn_layoutEvPKT_S3_PS1_iiiiiiiiiiiiii.uses_vcc, 1
	.set _Z16conv2d_dw_kernelIf11whcn_layoutEvPKT_S3_PS1_iiiiiiiiiiiiii.uses_flat_scratch, 0
	.set _Z16conv2d_dw_kernelIf11whcn_layoutEvPKT_S3_PS1_iiiiiiiiiiiiii.has_dyn_sized_stack, 0
	.set _Z16conv2d_dw_kernelIf11whcn_layoutEvPKT_S3_PS1_iiiiiiiiiiiiii.has_recursion, 0
	.set _Z16conv2d_dw_kernelIf11whcn_layoutEvPKT_S3_PS1_iiiiiiiiiiiiii.has_indirect_call, 0
	.section	.AMDGPU.csdata,"",@progbits
; Kernel info:
; codeLenInByte = 1868
; TotalNumSgprs: 27
; NumVgprs: 19
; ScratchSize: 0
; MemoryBound: 0
; FloatMode: 240
; IeeeMode: 1
; LDSByteSize: 0 bytes/workgroup (compile time only)
; SGPRBlocks: 0
; VGPRBlocks: 1
; NumSGPRsForWavesPerEU: 27
; NumVGPRsForWavesPerEU: 19
; NamedBarCnt: 0
; Occupancy: 16
; WaveLimiterHint : 0
; COMPUTE_PGM_RSRC2:SCRATCH_EN: 0
; COMPUTE_PGM_RSRC2:USER_SGPR: 2
; COMPUTE_PGM_RSRC2:TRAP_HANDLER: 0
; COMPUTE_PGM_RSRC2:TGID_X_EN: 1
; COMPUTE_PGM_RSRC2:TGID_Y_EN: 0
; COMPUTE_PGM_RSRC2:TGID_Z_EN: 0
; COMPUTE_PGM_RSRC2:TIDIG_COMP_CNT: 0
	.section	.text._Z16conv2d_dw_kernelIf11cwhn_layoutEvPKT_S3_PS1_iiiiiiiiiiiiii,"axG",@progbits,_Z16conv2d_dw_kernelIf11cwhn_layoutEvPKT_S3_PS1_iiiiiiiiiiiiii,comdat
	.protected	_Z16conv2d_dw_kernelIf11cwhn_layoutEvPKT_S3_PS1_iiiiiiiiiiiiii ; -- Begin function _Z16conv2d_dw_kernelIf11cwhn_layoutEvPKT_S3_PS1_iiiiiiiiiiiiii
	.globl	_Z16conv2d_dw_kernelIf11cwhn_layoutEvPKT_S3_PS1_iiiiiiiiiiiiii
	.p2align	8
	.type	_Z16conv2d_dw_kernelIf11cwhn_layoutEvPKT_S3_PS1_iiiiiiiiiiiiii,@function
_Z16conv2d_dw_kernelIf11cwhn_layoutEvPKT_S3_PS1_iiiiiiiiiiiiii: ; @_Z16conv2d_dw_kernelIf11cwhn_layoutEvPKT_S3_PS1_iiiiiiiiiiiiii
; %bb.0:
	s_clause 0x2
	s_load_b32 s2, s[0:1], 0x5c
	s_load_b64 s[20:21], s[0:1], 0x48
	s_load_b256 s[4:11], s[0:1], 0x18
	s_bfe_u32 s3, ttmp6, 0x4000c
	s_and_b32 s12, ttmp6, 15
	s_add_co_i32 s3, s3, 1
	s_getreg_b32 s13, hwreg(HW_REG_IB_STS2, 6, 4)
	s_mul_i32 s3, ttmp9, s3
	s_delay_alu instid0(SALU_CYCLE_1) | instskip(SKIP_4) | instid1(SALU_CYCLE_1)
	s_add_co_i32 s12, s12, s3
	s_wait_kmcnt 0x0
	s_and_b32 s2, s2, 0xffff
	s_cmp_eq_u32 s13, 0
	s_cselect_b32 s3, ttmp9, s12
	v_mad_u32 v2, s3, s2, v0
	s_mul_i32 s2, s20, s6
	s_delay_alu instid0(SALU_CYCLE_1) | instskip(NEXT) | instid1(SALU_CYCLE_1)
	s_mul_i32 s16, s2, s7
	s_mul_i32 s3, s16, s21
	s_delay_alu instid0(VALU_DEP_1) | instid1(SALU_CYCLE_1)
	v_cmp_gt_i32_e32 vcc_lo, s3, v2
	s_mov_b32 s3, 0
	s_and_saveexec_b32 s12, vcc_lo
	s_cbranch_execz .LBB1_10
; %bb.1:
	s_abs_i32 s12, s2
	s_abs_i32 s17, s20
	s_cvt_f32_u32 s13, s12
	s_sub_co_i32 s14, 0, s12
	s_ashr_i32 s2, s2, 31
	s_abs_i32 s18, s7
	v_rcp_iflag_f32_e32 v0, s13
	s_abs_i32 s19, s6
	s_abs_i32 s21, s16
	s_cvt_f32_u32 s22, s19
	s_cvt_f32_u32 s24, s21
	s_sub_co_i32 s25, 0, s21
	s_sub_co_i32 s23, 0, s19
	v_nop
	v_readfirstlane_b32 s13, v0
	v_dual_sub_nc_u32 v0, 0, v2 :: v_dual_ashrrev_i32 v7, 31, v2
	v_rcp_iflag_f32_e32 v9, s24
	s_mul_f32 s13, s13, 0x4f7ffffe
	s_delay_alu instid0(VALU_DEP_1) | instskip(NEXT) | instid1(VALU_DEP_2)
	v_max_i32_e32 v0, v2, v0
	v_xor_b32_e32 v8, s2, v7
	s_delay_alu instid0(SALU_CYCLE_1) | instskip(NEXT) | instid1(SALU_CYCLE_3)
	s_cvt_u32_f32 s13, s13
	s_mul_i32 s14, s14, s13
	s_delay_alu instid0(SALU_CYCLE_1) | instskip(NEXT) | instid1(SALU_CYCLE_1)
	s_mul_hi_u32 s14, s13, s14
	s_add_co_i32 s13, s13, s14
	s_cvt_f32_u32 s14, s18
	v_mul_hi_u32 v1, v0, s13
	s_cvt_f32_u32 s13, s17
	s_delay_alu instid0(SALU_CYCLE_1) | instskip(SKIP_1) | instid1(VALU_DEP_1)
	v_rcp_iflag_f32_e32 v6, s14
	s_sub_co_i32 s14, 0, s18
	v_mul_lo_u32 v3, v1, s12
	s_delay_alu instid0(VALU_DEP_1) | instskip(NEXT) | instid1(VALU_DEP_1)
	v_dual_add_nc_u32 v4, 1, v1 :: v_dual_sub_nc_u32 v3, v0, v3
	v_cmp_le_u32_e32 vcc_lo, s12, v3
	s_delay_alu instid0(VALU_DEP_2) | instskip(SKIP_1) | instid1(VALU_DEP_2)
	v_cndmask_b32_e32 v1, v1, v4, vcc_lo
	v_subrev_nc_u32_e32 v5, s12, v3
	v_add_nc_u32_e32 v4, 1, v1
	s_delay_alu instid0(VALU_DEP_2) | instskip(SKIP_2) | instid1(VALU_DEP_1)
	v_cndmask_b32_e32 v3, v3, v5, vcc_lo
	v_rcp_iflag_f32_e32 v5, s13
	s_sub_co_i32 s13, 0, s17
	v_cmp_le_u32_e32 vcc_lo, s12, v3
	v_readfirstlane_b32 s12, v6
	s_delay_alu instid0(TRANS32_DEP_1) | instskip(SKIP_3) | instid1(SALU_CYCLE_2)
	v_readfirstlane_b32 s2, v5
	v_cndmask_b32_e32 v1, v1, v4, vcc_lo
	s_mul_f32 s12, s12, 0x4f7ffffe
	s_mul_f32 s2, s2, 0x4f7ffffe
	s_cvt_u32_f32 s12, s12
	s_delay_alu instid0(SALU_CYCLE_2) | instskip(NEXT) | instid1(SALU_CYCLE_2)
	s_cvt_u32_f32 s2, s2
	s_mul_i32 s14, s14, s12
	s_delay_alu instid0(SALU_CYCLE_2) | instskip(SKIP_4) | instid1(SALU_CYCLE_1)
	s_mul_i32 s13, s13, s2
	s_mul_hi_u32 s14, s12, s14
	s_mul_hi_u32 s13, s2, s13
	s_add_co_i32 s12, s12, s14
	s_add_co_i32 s2, s2, s13
	v_mul_hi_u32 v4, v0, s2
	s_ashr_i32 s2, s20, 31
	s_delay_alu instid0(VALU_DEP_1) | instskip(NEXT) | instid1(VALU_DEP_1)
	v_mul_lo_u32 v6, v4, s17
	v_dual_sub_nc_u32 v6, v0, v6 :: v_dual_bitop2_b32 v1, v1, v8 bitop3:0x14
	s_delay_alu instid0(VALU_DEP_1) | instskip(NEXT) | instid1(VALU_DEP_2)
	v_cmp_le_u32_e32 vcc_lo, s17, v6
	v_sub_nc_u32_e32 v1, v1, v8
	v_subrev_nc_u32_e32 v10, s17, v6
	v_rcp_iflag_f32_e32 v8, s22
	v_nop
	v_readfirstlane_b32 s22, v9
	s_delay_alu instid0(VALU_DEP_3) | instskip(NEXT) | instid1(VALU_DEP_1)
	v_dual_cndmask_b32 v6, v6, v10 :: v_dual_sub_nc_u32 v3, 0, v1
	v_max_i32_e32 v3, v1, v3
	s_delay_alu instid0(VALU_DEP_1) | instskip(SKIP_1) | instid1(VALU_DEP_1)
	v_mul_hi_u32 v5, v3, s12
	s_load_b128 s[12:15], s[0:1], 0x38
	v_mul_lo_u32 v5, v5, s18
	s_delay_alu instid0(VALU_DEP_1) | instskip(SKIP_1) | instid1(VALU_DEP_2)
	v_dual_sub_nc_u32 v3, v3, v5 :: v_dual_add_nc_u32 v5, 1, v4
	v_ashrrev_i32_e32 v1, 31, v1
	v_subrev_nc_u32_e32 v11, s18, v3
	s_delay_alu instid0(VALU_DEP_3)
	v_dual_cndmask_b32 v4, v4, v5, vcc_lo :: v_dual_bitop2_b32 v5, s2, v7 bitop3:0x14
	v_cmp_le_u32_e64 s2, s18, v3
	v_cmp_le_u32_e32 vcc_lo, s17, v6
	s_mul_f32 s17, s22, 0x4f7ffffe
	v_dual_add_nc_u32 v10, 1, v4 :: v_dual_cndmask_b32 v3, v3, v11, s2
	v_readfirstlane_b32 s2, v8
	s_delay_alu instid0(SALU_CYCLE_1)
	s_cvt_u32_f32 s17, s17
	v_cndmask_b32_e32 v4, v4, v10, vcc_lo
	v_subrev_nc_u32_e32 v8, s18, v3
	v_cmp_le_u32_e32 vcc_lo, s18, v3
	s_wait_kmcnt 0x0
	s_abs_i32 s18, s15
	v_xor_b32_e32 v6, v4, v5
	s_cvt_f32_u32 s22, s18
	s_mul_i32 s25, s25, s17
	v_cndmask_b32_e32 v3, v3, v8, vcc_lo
	s_mul_f32 s2, s2, 0x4f7ffffe
	s_delay_alu instid0(VALU_DEP_1) | instskip(SKIP_1) | instid1(SALU_CYCLE_1)
	v_xor_b32_e32 v4, v3, v1
	v_sub_nc_u32_e32 v3, v6, v5
	s_cvt_u32_f32 s2, s2
	s_delay_alu instid0(VALU_DEP_1) | instskip(SKIP_1) | instid1(SALU_CYCLE_1)
	v_dual_sub_nc_u32 v8, 0, v3 :: v_dual_sub_nc_u32 v4, v4, v1
	v_rcp_iflag_f32_e32 v1, s22
	s_mul_i32 s23, s23, s2
	s_delay_alu instid0(SALU_CYCLE_1) | instskip(NEXT) | instid1(VALU_DEP_1)
	s_mul_hi_u32 s22, s2, s23
	v_mul_lo_u32 v11, v4, s11
	s_mul_hi_u32 s11, s17, s25
	s_add_co_i32 s2, s2, s22
	s_add_co_i32 s17, s17, s11
	v_readfirstlane_b32 s11, v1
	v_mul_hi_u32 v1, v0, s17
	s_add_co_i32 s17, s13, s15
	s_load_b64 s[22:23], s[0:1], 0x10
	v_xad_u32 v10, v11, -1, s17
	s_delay_alu instid0(VALU_DEP_1) | instskip(NEXT) | instid1(VALU_DEP_3)
	v_dual_add_nc_u32 v12, s5, v10 :: v_dual_max_i32 v8, v3, v8
	v_mul_lo_u32 v14, v1, s21
	s_delay_alu instid0(VALU_DEP_2) | instskip(NEXT) | instid1(VALU_DEP_3)
	v_dual_sub_nc_u32 v13, 0, v10 :: v_dual_sub_nc_u32 v15, 0, v12
	v_mul_hi_u32 v9, v8, s2
	s_mul_f32 s2, s11, 0x4f7ffffe
	s_sub_co_i32 s11, 0, s18
	s_delay_alu instid0(VALU_DEP_2) | instskip(SKIP_3) | instid1(SALU_CYCLE_2)
	v_max_i32_e32 v13, v10, v13
	v_max_i32_e32 v15, v12, v15
	s_cvt_u32_f32 s2, s2
	v_sub_nc_u32_e32 v0, v0, v14
	s_mul_i32 s11, s11, s2
	s_delay_alu instid0(VALU_DEP_4) | instskip(SKIP_1) | instid1(VALU_DEP_2)
	v_mul_lo_u32 v9, v9, s19
	s_mul_hi_u32 s11, s2, s11
	v_cmp_le_u32_e32 vcc_lo, s21, v0
	s_add_co_i32 s2, s2, s11
	s_ashr_i32 s11, s16, 31
	v_mul_hi_u32 v16, v13, s2
	v_dual_add_nc_u32 v7, 1, v1 :: v_dual_bitop2_b32 v18, s11, v7 bitop3:0x14
	v_mul_hi_u32 v17, v15, s2
	s_ashr_i32 s16, s15, 31
	s_abs_i32 s11, s14
	v_sub_nc_u32_e32 v8, v8, v9
	s_delay_alu instid0(VALU_DEP_4) | instskip(NEXT) | instid1(VALU_DEP_2)
	v_mul_lo_u32 v14, v16, s18
	v_subrev_nc_u32_e32 v9, s19, v8
	v_cmp_le_u32_e64 s2, s19, v8
	v_mul_lo_u32 v19, v17, s18
	v_cndmask_b32_e32 v1, v1, v7, vcc_lo
	v_subrev_nc_u32_e32 v7, s21, v0
	s_delay_alu instid0(VALU_DEP_4) | instskip(NEXT) | instid1(VALU_DEP_2)
	v_cndmask_b32_e64 v8, v8, v9, s2
	v_dual_cndmask_b32 v0, v0, v7 :: v_dual_add_nc_u32 v9, 1, v1
	v_ashrrev_i32_e32 v7, 31, v10
	v_dual_sub_nc_u32 v13, v13, v14 :: v_dual_add_nc_u32 v14, 1, v16
	v_dual_sub_nc_u32 v15, v15, v19 :: v_dual_add_nc_u32 v19, 1, v17
	s_delay_alu instid0(VALU_DEP_3) | instskip(NEXT) | instid1(VALU_DEP_3)
	v_xor_b32_e32 v7, s16, v7
	v_cmp_le_u32_e32 vcc_lo, s18, v13
	v_subrev_nc_u32_e32 v10, s19, v8
	s_delay_alu instid0(VALU_DEP_4) | instskip(SKIP_3) | instid1(VALU_DEP_4)
	v_cmp_le_u32_e64 s2, s18, v15
	v_subrev_nc_u32_e32 v20, s18, v15
	v_cndmask_b32_e32 v14, v16, v14, vcc_lo
	v_subrev_nc_u32_e32 v16, s18, v13
	v_dual_cndmask_b32 v17, v17, v19, s2 :: v_dual_ashrrev_i32 v12, 31, v12
	s_delay_alu instid0(VALU_DEP_1) | instskip(NEXT) | instid1(VALU_DEP_4)
	v_dual_cndmask_b32 v13, v13, v16, vcc_lo :: v_dual_add_nc_u32 v19, 1, v17
	v_dual_add_nc_u32 v16, 1, v14 :: v_dual_cndmask_b32 v15, v15, v20, s2
	s_delay_alu instid0(VALU_DEP_3) | instskip(NEXT) | instid1(VALU_DEP_3)
	v_xor_b32_e32 v12, s16, v12
	v_cmp_le_u32_e32 vcc_lo, s18, v13
	s_cvt_f32_u32 s2, s11
	s_delay_alu instid0(VALU_DEP_3)
	v_cndmask_b32_e32 v13, v14, v16, vcc_lo
	v_cmp_le_u32_e32 vcc_lo, s18, v15
	v_ashrrev_i32_e32 v15, 31, v3
	v_cndmask_b32_e32 v14, v17, v19, vcc_lo
	v_cmp_le_u32_e32 vcc_lo, s19, v8
	v_cndmask_b32_e32 v8, v8, v10, vcc_lo
	v_cmp_le_u32_e32 vcc_lo, s21, v0
	v_xor_b32_e32 v10, v13, v7
	v_dual_cndmask_b32 v0, v1, v9, vcc_lo :: v_dual_bitop2_b32 v13, v14, v12 bitop3:0x14
	s_delay_alu instid0(VALU_DEP_1) | instskip(SKIP_1) | instid1(VALU_DEP_2)
	v_dual_sub_nc_u32 v8, v13, v12 :: v_dual_bitop2_b32 v1, v8, v15 bitop3:0x14
	v_rcp_iflag_f32_e32 v12, s2
	v_dual_sub_nc_u32 v7, v10, v7 :: v_dual_bitop2_b32 v0, v0, v18 bitop3:0x14
	s_delay_alu instid0(VALU_DEP_2) | instskip(SKIP_1) | instid1(VALU_DEP_2)
	v_min_i32_e32 v10, s9, v8
	s_mov_b32 s9, exec_lo
	v_dual_sub_nc_u32 v8, v0, v18 :: v_dual_max_i32 v9, 0, v7
	v_sub_nc_u32_e32 v7, v1, v15
	s_delay_alu instid0(TRANS32_DEP_1) | instskip(SKIP_1) | instid1(VALU_DEP_4)
	v_readfirstlane_b32 s2, v12
	v_mov_b32_e32 v1, 0
	v_cmpx_lt_i32_e64 v9, v10
	s_cbranch_execz .LBB1_9
; %bb.2:
	v_mul_lo_u32 v18, v7, s10
	s_add_co_i32 s10, s12, s14
	s_mul_f32 s2, s2, 0x4f7ffffe
	v_mad_u32 v11, s15, v9, v11
	s_load_b128 s[16:19], s[0:1], 0x0
	s_wait_xcnt 0x0
	s_mov_b32 s1, 0
	s_cvt_u32_f32 s2, s2
	v_mov_b32_e32 v15, v1
	s_delay_alu instid0(VALU_DEP_3) | instskip(SKIP_1) | instid1(SALU_CYCLE_1)
	v_xad_u32 v19, v18, -1, s10
	s_sub_co_i32 s10, 0, s11
	s_mul_i32 s10, s10, s2
	s_delay_alu instid0(VALU_DEP_3) | instskip(NEXT) | instid1(VALU_DEP_2)
	v_mad_u32 v11, v8, s5, v11
	v_sub_nc_u32_e32 v0, 0, v19
	s_mul_hi_u32 s10, s2, s10
	s_delay_alu instid0(SALU_CYCLE_1) | instskip(NEXT) | instid1(VALU_DEP_1)
	s_add_co_i32 s2, s2, s10
	v_max_i32_e32 v0, v19, v0
	s_delay_alu instid0(VALU_DEP_3) | instskip(NEXT) | instid1(VALU_DEP_2)
	v_subrev_nc_u32_e32 v11, s13, v11
	v_mul_u64_e32 v[12:13], s[2:3], v[0:1]
	v_add_nc_u32_e32 v12, s4, v19
	s_delay_alu instid0(VALU_DEP_3) | instskip(NEXT) | instid1(VALU_DEP_2)
	v_mul_lo_u32 v11, s4, v11
	v_sub_nc_u32_e32 v14, 0, v12
	s_delay_alu instid0(VALU_DEP_4) | instskip(NEXT) | instid1(VALU_DEP_1)
	v_mul_lo_u32 v20, v13, s11
	v_sub_nc_u32_e32 v0, v0, v20
	s_delay_alu instid0(VALU_DEP_1) | instskip(NEXT) | instid1(VALU_DEP_4)
	v_cmp_le_u32_e32 vcc_lo, s11, v0
	v_max_i32_e32 v14, v12, v14
	s_delay_alu instid0(VALU_DEP_1) | instskip(SKIP_3) | instid1(VALU_DEP_1)
	v_mul_u64_e32 v[16:17], s[2:3], v[14:15]
	v_add_nc_u32_e32 v15, 1, v13
	s_ashr_i32 s2, s14, 31
	s_mul_i32 s3, s20, s14
	v_cndmask_b32_e32 v13, v13, v15, vcc_lo
	v_ashrrev_i32_e32 v15, 31, v19
	v_subrev_nc_u32_e32 v16, s11, v0
	s_delay_alu instid0(VALU_DEP_1) | instskip(NEXT) | instid1(VALU_DEP_1)
	v_dual_cndmask_b32 v0, v0, v16, vcc_lo :: v_dual_add_nc_u32 v16, 1, v13
	v_cmp_le_u32_e32 vcc_lo, s11, v0
	s_delay_alu instid0(VALU_DEP_2) | instskip(SKIP_1) | instid1(VALU_DEP_1)
	v_dual_cndmask_b32 v0, v13, v16, vcc_lo :: v_dual_bitop2_b32 v15, s2, v15 bitop3:0x14
	v_mul_lo_u32 v13, v17, s11
	v_dual_sub_nc_u32 v13, v14, v13 :: v_dual_bitop2_b32 v0, v0, v15 bitop3:0x14
	s_delay_alu instid0(VALU_DEP_1) | instskip(NEXT) | instid1(VALU_DEP_2)
	v_dual_sub_nc_u32 v0, v0, v15 :: v_dual_add_nc_u32 v14, 1, v17
	v_cmp_le_u32_e32 vcc_lo, s11, v13
	s_delay_alu instid0(VALU_DEP_2) | instskip(SKIP_1) | instid1(VALU_DEP_4)
	v_max_i32_e32 v0, 0, v0
	v_subrev_nc_u32_e32 v16, s11, v13
	v_cndmask_b32_e32 v14, v17, v14, vcc_lo
	s_delay_alu instid0(VALU_DEP_3) | instskip(NEXT) | instid1(VALU_DEP_3)
	v_mad_u32 v15, s14, v0, v5
	v_cndmask_b32_e32 v13, v13, v16, vcc_lo
	s_delay_alu instid0(VALU_DEP_3) | instskip(NEXT) | instid1(VALU_DEP_2)
	v_dual_ashrrev_i32 v12, 31, v12 :: v_dual_add_nc_u32 v16, 1, v14
	v_cmp_le_u32_e32 vcc_lo, s11, v13
	s_delay_alu instid0(VALU_DEP_2) | instskip(SKIP_1) | instid1(VALU_DEP_1)
	v_cndmask_b32_e32 v13, v14, v16, vcc_lo
	v_add3_u32 v11, v15, v11, v18
	v_dual_add_nc_u32 v5, v5, v0 :: v_dual_sub_nc_u32 v11, v11, v6
	s_delay_alu instid0(VALU_DEP_1) | instskip(SKIP_2) | instid1(VALU_DEP_3)
	v_mad_u32 v5, s8, v9, v5
	v_xor_b32_e32 v12, s2, v12
	s_mul_i32 s2, s20, s15
	v_subrev_nc_u32_e32 v11, s12, v11
	s_mul_i32 s2, s2, s4
	s_mul_i32 s4, s20, s8
	s_delay_alu instid0(VALU_DEP_3) | instskip(SKIP_2) | instid1(VALU_DEP_3)
	v_sub_nc_u32_e32 v6, v5, v6
	v_xor_b32_e32 v13, v13, v12
	v_mad_u32 v5, s20, v11, v2
	v_mad_u32 v6, s20, v6, v2
	s_delay_alu instid0(VALU_DEP_3) | instskip(NEXT) | instid1(VALU_DEP_1)
	v_sub_nc_u32_e32 v12, v13, v12
	v_min_i32_e32 v11, s8, v12
	s_delay_alu instid0(VALU_DEP_1)
	v_cmp_lt_i32_e32 vcc_lo, v0, v11
	s_branch .LBB1_4
.LBB1_3:                                ;   in Loop: Header=BB1_4 Depth=1
	s_or_b32 exec_lo, exec_lo, s5
	s_delay_alu instid0(VALU_DEP_4) | instskip(SKIP_1) | instid1(VALU_DEP_2)
	v_dual_add_nc_u32 v9, 1, v9 :: v_dual_add_nc_u32 v6, s4, v6
	v_add_nc_u32_e32 v5, s2, v5
	v_cmp_ge_i32_e64 s0, v9, v10
	s_or_b32 s1, s0, s1
	s_delay_alu instid0(SALU_CYCLE_1)
	s_and_not1_b32 exec_lo, exec_lo, s1
	s_cbranch_execz .LBB1_8
.LBB1_4:                                ; =>This Loop Header: Depth=1
                                        ;     Child Loop BB1_6 Depth 2
	s_and_saveexec_b32 s5, vcc_lo
	s_cbranch_execz .LBB1_3
; %bb.5:                                ;   in Loop: Header=BB1_4 Depth=1
	s_delay_alu instid0(VALU_DEP_4)
	v_dual_mov_b32 v12, v6 :: v_dual_mov_b32 v13, v5
	v_mov_b32_e32 v14, v0
	s_mov_b32 s8, 0
.LBB1_6:                                ;   Parent Loop BB1_4 Depth=1
                                        ; =>  This Inner Loop Header: Depth=2
	s_wait_kmcnt 0x0
	global_load_b32 v15, v13, s[16:17] scale_offset
	global_load_b32 v16, v12, s[18:19] scale_offset
	s_wait_xcnt 0x1
	v_dual_add_nc_u32 v14, 1, v14 :: v_dual_add_nc_u32 v13, s3, v13
	s_wait_xcnt 0x0
	v_add_nc_u32_e32 v12, s20, v12
	s_delay_alu instid0(VALU_DEP_2)
	v_cmp_ge_i32_e64 s0, v14, v11
	s_or_b32 s8, s0, s8
	s_wait_loadcnt 0x0
	v_fmac_f32_e32 v1, v15, v16
	s_and_not1_b32 exec_lo, exec_lo, s8
	s_cbranch_execnz .LBB1_6
; %bb.7:                                ;   in Loop: Header=BB1_4 Depth=1
	s_or_b32 exec_lo, exec_lo, s8
	s_branch .LBB1_3
.LBB1_8:
	s_or_b32 exec_lo, exec_lo, s1
.LBB1_9:
	s_delay_alu instid0(SALU_CYCLE_1) | instskip(SKIP_2) | instid1(VALU_DEP_2)
	s_or_b32 exec_lo, exec_lo, s9
	v_mad_u32 v0, v8, s7, v4
	v_mul_lo_u32 v3, v3, s20
	v_mad_u32 v0, v0, s6, v7
	s_delay_alu instid0(VALU_DEP_2) | instskip(NEXT) | instid1(VALU_DEP_1)
	v_sub_nc_u32_e32 v2, v2, v3
	v_mad_u32 v0, v0, s20, v2
	s_wait_kmcnt 0x0
	global_store_b32 v0, v1, s[22:23] scale_offset
.LBB1_10:
	s_endpgm
	.section	.rodata,"a",@progbits
	.p2align	6, 0x0
	.amdhsa_kernel _Z16conv2d_dw_kernelIf11cwhn_layoutEvPKT_S3_PS1_iiiiiiiiiiiiii
		.amdhsa_group_segment_fixed_size 0
		.amdhsa_private_segment_fixed_size 0
		.amdhsa_kernarg_size 336
		.amdhsa_user_sgpr_count 2
		.amdhsa_user_sgpr_dispatch_ptr 0
		.amdhsa_user_sgpr_queue_ptr 0
		.amdhsa_user_sgpr_kernarg_segment_ptr 1
		.amdhsa_user_sgpr_dispatch_id 0
		.amdhsa_user_sgpr_kernarg_preload_length 0
		.amdhsa_user_sgpr_kernarg_preload_offset 0
		.amdhsa_user_sgpr_private_segment_size 0
		.amdhsa_wavefront_size32 1
		.amdhsa_uses_dynamic_stack 0
		.amdhsa_enable_private_segment 0
		.amdhsa_system_sgpr_workgroup_id_x 1
		.amdhsa_system_sgpr_workgroup_id_y 0
		.amdhsa_system_sgpr_workgroup_id_z 0
		.amdhsa_system_sgpr_workgroup_info 0
		.amdhsa_system_vgpr_workitem_id 0
		.amdhsa_next_free_vgpr 21
		.amdhsa_next_free_sgpr 26
		.amdhsa_named_barrier_count 0
		.amdhsa_reserve_vcc 1
		.amdhsa_float_round_mode_32 0
		.amdhsa_float_round_mode_16_64 0
		.amdhsa_float_denorm_mode_32 3
		.amdhsa_float_denorm_mode_16_64 3
		.amdhsa_fp16_overflow 0
		.amdhsa_memory_ordered 1
		.amdhsa_forward_progress 1
		.amdhsa_inst_pref_size 15
		.amdhsa_round_robin_scheduling 0
		.amdhsa_exception_fp_ieee_invalid_op 0
		.amdhsa_exception_fp_denorm_src 0
		.amdhsa_exception_fp_ieee_div_zero 0
		.amdhsa_exception_fp_ieee_overflow 0
		.amdhsa_exception_fp_ieee_underflow 0
		.amdhsa_exception_fp_ieee_inexact 0
		.amdhsa_exception_int_div_zero 0
	.end_amdhsa_kernel
	.section	.text._Z16conv2d_dw_kernelIf11cwhn_layoutEvPKT_S3_PS1_iiiiiiiiiiiiii,"axG",@progbits,_Z16conv2d_dw_kernelIf11cwhn_layoutEvPKT_S3_PS1_iiiiiiiiiiiiii,comdat
.Lfunc_end1:
	.size	_Z16conv2d_dw_kernelIf11cwhn_layoutEvPKT_S3_PS1_iiiiiiiiiiiiii, .Lfunc_end1-_Z16conv2d_dw_kernelIf11cwhn_layoutEvPKT_S3_PS1_iiiiiiiiiiiiii
                                        ; -- End function
	.set _Z16conv2d_dw_kernelIf11cwhn_layoutEvPKT_S3_PS1_iiiiiiiiiiiiii.num_vgpr, 21
	.set _Z16conv2d_dw_kernelIf11cwhn_layoutEvPKT_S3_PS1_iiiiiiiiiiiiii.num_agpr, 0
	.set _Z16conv2d_dw_kernelIf11cwhn_layoutEvPKT_S3_PS1_iiiiiiiiiiiiii.numbered_sgpr, 26
	.set _Z16conv2d_dw_kernelIf11cwhn_layoutEvPKT_S3_PS1_iiiiiiiiiiiiii.num_named_barrier, 0
	.set _Z16conv2d_dw_kernelIf11cwhn_layoutEvPKT_S3_PS1_iiiiiiiiiiiiii.private_seg_size, 0
	.set _Z16conv2d_dw_kernelIf11cwhn_layoutEvPKT_S3_PS1_iiiiiiiiiiiiii.uses_vcc, 1
	.set _Z16conv2d_dw_kernelIf11cwhn_layoutEvPKT_S3_PS1_iiiiiiiiiiiiii.uses_flat_scratch, 0
	.set _Z16conv2d_dw_kernelIf11cwhn_layoutEvPKT_S3_PS1_iiiiiiiiiiiiii.has_dyn_sized_stack, 0
	.set _Z16conv2d_dw_kernelIf11cwhn_layoutEvPKT_S3_PS1_iiiiiiiiiiiiii.has_recursion, 0
	.set _Z16conv2d_dw_kernelIf11cwhn_layoutEvPKT_S3_PS1_iiiiiiiiiiiiii.has_indirect_call, 0
	.section	.AMDGPU.csdata,"",@progbits
; Kernel info:
; codeLenInByte = 1888
; TotalNumSgprs: 28
; NumVgprs: 21
; ScratchSize: 0
; MemoryBound: 0
; FloatMode: 240
; IeeeMode: 1
; LDSByteSize: 0 bytes/workgroup (compile time only)
; SGPRBlocks: 0
; VGPRBlocks: 1
; NumSGPRsForWavesPerEU: 28
; NumVGPRsForWavesPerEU: 21
; NamedBarCnt: 0
; Occupancy: 16
; WaveLimiterHint : 0
; COMPUTE_PGM_RSRC2:SCRATCH_EN: 0
; COMPUTE_PGM_RSRC2:USER_SGPR: 2
; COMPUTE_PGM_RSRC2:TRAP_HANDLER: 0
; COMPUTE_PGM_RSRC2:TGID_X_EN: 1
; COMPUTE_PGM_RSRC2:TGID_Y_EN: 0
; COMPUTE_PGM_RSRC2:TGID_Z_EN: 0
; COMPUTE_PGM_RSRC2:TIDIG_COMP_CNT: 0
	.section	.AMDGPU.gpr_maximums,"",@progbits
	.set amdgpu.max_num_vgpr, 0
	.set amdgpu.max_num_agpr, 0
	.set amdgpu.max_num_sgpr, 0
	.section	.AMDGPU.csdata,"",@progbits
	.type	__hip_cuid_719344d7aa418117,@object ; @__hip_cuid_719344d7aa418117
	.section	.bss,"aw",@nobits
	.globl	__hip_cuid_719344d7aa418117
__hip_cuid_719344d7aa418117:
	.byte	0                               ; 0x0
	.size	__hip_cuid_719344d7aa418117, 1

	.ident	"AMD clang version 22.0.0git (https://github.com/RadeonOpenCompute/llvm-project roc-7.2.4 26084 f58b06dce1f9c15707c5f808fd002e18c2accf7e)"
	.section	".note.GNU-stack","",@progbits
	.addrsig
	.addrsig_sym __hip_cuid_719344d7aa418117
	.amdgpu_metadata
---
amdhsa.kernels:
  - .args:
      - .actual_access:  read_only
        .address_space:  global
        .offset:         0
        .size:           8
        .value_kind:     global_buffer
      - .actual_access:  read_only
        .address_space:  global
        .offset:         8
        .size:           8
        .value_kind:     global_buffer
      - .actual_access:  write_only
        .address_space:  global
        .offset:         16
        .size:           8
        .value_kind:     global_buffer
      - .offset:         24
        .size:           4
        .value_kind:     by_value
      - .offset:         28
        .size:           4
        .value_kind:     by_value
      - .offset:         32
        .size:           4
        .value_kind:     by_value
      - .offset:         36
        .size:           4
        .value_kind:     by_value
      - .offset:         40
        .size:           4
        .value_kind:     by_value
      - .offset:         44
        .size:           4
        .value_kind:     by_value
      - .offset:         48
        .size:           4
        .value_kind:     by_value
      - .offset:         52
        .size:           4
        .value_kind:     by_value
      - .offset:         56
        .size:           4
        .value_kind:     by_value
      - .offset:         60
        .size:           4
        .value_kind:     by_value
      - .offset:         64
        .size:           4
        .value_kind:     by_value
      - .offset:         68
        .size:           4
        .value_kind:     by_value
      - .offset:         72
        .size:           4
        .value_kind:     by_value
      - .offset:         76
        .size:           4
        .value_kind:     by_value
      - .offset:         80
        .size:           4
        .value_kind:     hidden_block_count_x
      - .offset:         84
        .size:           4
        .value_kind:     hidden_block_count_y
      - .offset:         88
        .size:           4
        .value_kind:     hidden_block_count_z
      - .offset:         92
        .size:           2
        .value_kind:     hidden_group_size_x
      - .offset:         94
        .size:           2
        .value_kind:     hidden_group_size_y
      - .offset:         96
        .size:           2
        .value_kind:     hidden_group_size_z
      - .offset:         98
        .size:           2
        .value_kind:     hidden_remainder_x
      - .offset:         100
        .size:           2
        .value_kind:     hidden_remainder_y
      - .offset:         102
        .size:           2
        .value_kind:     hidden_remainder_z
      - .offset:         120
        .size:           8
        .value_kind:     hidden_global_offset_x
      - .offset:         128
        .size:           8
        .value_kind:     hidden_global_offset_y
      - .offset:         136
        .size:           8
        .value_kind:     hidden_global_offset_z
      - .offset:         144
        .size:           2
        .value_kind:     hidden_grid_dims
    .group_segment_fixed_size: 0
    .kernarg_segment_align: 8
    .kernarg_segment_size: 336
    .language:       OpenCL C
    .language_version:
      - 2
      - 0
    .max_flat_workgroup_size: 1024
    .name:           _Z16conv2d_dw_kernelIf11whcn_layoutEvPKT_S3_PS1_iiiiiiiiiiiiii
    .private_segment_fixed_size: 0
    .sgpr_count:     27
    .sgpr_spill_count: 0
    .symbol:         _Z16conv2d_dw_kernelIf11whcn_layoutEvPKT_S3_PS1_iiiiiiiiiiiiii.kd
    .uniform_work_group_size: 1
    .uses_dynamic_stack: false
    .vgpr_count:     19
    .vgpr_spill_count: 0
    .wavefront_size: 32
  - .args:
      - .actual_access:  read_only
        .address_space:  global
        .offset:         0
        .size:           8
        .value_kind:     global_buffer
      - .actual_access:  read_only
        .address_space:  global
        .offset:         8
        .size:           8
        .value_kind:     global_buffer
      - .actual_access:  write_only
        .address_space:  global
        .offset:         16
        .size:           8
        .value_kind:     global_buffer
      - .offset:         24
        .size:           4
        .value_kind:     by_value
      - .offset:         28
        .size:           4
        .value_kind:     by_value
      - .offset:         32
        .size:           4
        .value_kind:     by_value
      - .offset:         36
        .size:           4
        .value_kind:     by_value
      - .offset:         40
        .size:           4
        .value_kind:     by_value
      - .offset:         44
        .size:           4
        .value_kind:     by_value
      - .offset:         48
        .size:           4
        .value_kind:     by_value
      - .offset:         52
        .size:           4
        .value_kind:     by_value
      - .offset:         56
        .size:           4
        .value_kind:     by_value
      - .offset:         60
        .size:           4
        .value_kind:     by_value
      - .offset:         64
        .size:           4
        .value_kind:     by_value
      - .offset:         68
        .size:           4
        .value_kind:     by_value
      - .offset:         72
        .size:           4
        .value_kind:     by_value
      - .offset:         76
        .size:           4
        .value_kind:     by_value
      - .offset:         80
        .size:           4
        .value_kind:     hidden_block_count_x
      - .offset:         84
        .size:           4
        .value_kind:     hidden_block_count_y
      - .offset:         88
        .size:           4
        .value_kind:     hidden_block_count_z
      - .offset:         92
        .size:           2
        .value_kind:     hidden_group_size_x
      - .offset:         94
        .size:           2
        .value_kind:     hidden_group_size_y
      - .offset:         96
        .size:           2
        .value_kind:     hidden_group_size_z
      - .offset:         98
        .size:           2
        .value_kind:     hidden_remainder_x
      - .offset:         100
        .size:           2
        .value_kind:     hidden_remainder_y
      - .offset:         102
        .size:           2
        .value_kind:     hidden_remainder_z
      - .offset:         120
        .size:           8
        .value_kind:     hidden_global_offset_x
      - .offset:         128
        .size:           8
        .value_kind:     hidden_global_offset_y
      - .offset:         136
        .size:           8
        .value_kind:     hidden_global_offset_z
      - .offset:         144
        .size:           2
        .value_kind:     hidden_grid_dims
    .group_segment_fixed_size: 0
    .kernarg_segment_align: 8
    .kernarg_segment_size: 336
    .language:       OpenCL C
    .language_version:
      - 2
      - 0
    .max_flat_workgroup_size: 1024
    .name:           _Z16conv2d_dw_kernelIf11cwhn_layoutEvPKT_S3_PS1_iiiiiiiiiiiiii
    .private_segment_fixed_size: 0
    .sgpr_count:     28
    .sgpr_spill_count: 0
    .symbol:         _Z16conv2d_dw_kernelIf11cwhn_layoutEvPKT_S3_PS1_iiiiiiiiiiiiii.kd
    .uniform_work_group_size: 1
    .uses_dynamic_stack: false
    .vgpr_count:     21
    .vgpr_spill_count: 0
    .wavefront_size: 32
amdhsa.target:   amdgcn-amd-amdhsa--gfx1250
amdhsa.version:
  - 1
  - 2
...

	.end_amdgpu_metadata
